;; amdgpu-corpus repo=zjin-lcf/HeCBench kind=compiled arch=gfx90a opt=O3
	.text
	.amdgcn_target "amdgcn-amd-amdhsa--gfx90a"
	.amdhsa_code_object_version 6
	.protected	_Z13DCT8x8_kernelPfPKfjjj ; -- Begin function _Z13DCT8x8_kernelPfPKfjjj
	.globl	_Z13DCT8x8_kernelPfPKfjjj
	.p2align	8
	.type	_Z13DCT8x8_kernelPfPKfjjj,@function
_Z13DCT8x8_kernelPfPKfjjj:              ; @_Z13DCT8x8_kernelPfPKfjjj
; %bb.0:
	s_load_dwordx4 s[8:11], s[4:5], 0x10
	v_and_b32_e32 v5, 0x3ff, v0
	v_bfe_u32 v7, v0, 10, 10
	v_lshlrev_b32_e32 v6, 3, v7
	v_and_b32_e32 v8, 7, v5
	v_lshl_add_u32 v0, s6, 5, v5
	v_lshl_add_u32 v1, s7, 4, v6
	v_xad_u32 v2, v8, 7, v0
	s_waitcnt lgkmcnt(0)
	v_cmp_gt_u32_e32 vcc, s10, v2
	v_or_b32_e32 v2, 7, v1
	v_cmp_gt_u32_e64 s[0:1], s9, v2
	s_and_b64 s[0:1], vcc, s[0:1]
	s_and_saveexec_b64 s[2:3], s[0:1]
	s_cbranch_execz .LBB0_2
; %bb.1:
	s_load_dwordx4 s[0:3], s[4:5], 0x0
	v_mad_u64_u32 v[0:1], s[4:5], v1, s8, v[0:1]
	v_mov_b32_e32 v1, 0
	v_lshlrev_b64 v[0:1], 2, v[0:1]
	s_mov_b32 s9, 0
	s_waitcnt lgkmcnt(0)
	v_mov_b32_e32 v2, s3
	v_add_co_u32_e32 v10, vcc, s2, v0
	v_addc_co_u32_e32 v11, vcc, v2, v1, vcc
	s_lshl_b64 s[2:3], s[8:9], 2
	v_mov_b32_e32 v2, s3
	v_add_co_u32_e32 v12, vcc, s2, v10
	s_lshl_b32 s4, s8, 1
	s_mov_b32 s5, s9
	v_addc_co_u32_e32 v13, vcc, v11, v2, vcc
	s_lshl_b64 s[4:5], s[4:5], 2
	v_mov_b32_e32 v3, s5
	v_add_co_u32_e32 v14, vcc, s4, v10
	s_mul_i32 s6, s8, 3
	s_mov_b32 s7, s9
	v_addc_co_u32_e32 v15, vcc, v11, v3, vcc
	s_lshl_b64 s[6:7], s[6:7], 2
	v_mov_b32_e32 v4, s7
	v_add_co_u32_e32 v16, vcc, s6, v10
	s_lshl_b32 s10, s8, 2
	s_mov_b32 s11, s9
	v_addc_co_u32_e32 v17, vcc, v11, v4, vcc
	s_lshl_b64 s[10:11], s[10:11], 2
	v_mov_b32_e32 v26, s11
	v_add_co_u32_e32 v18, vcc, s10, v10
	s_mul_i32 s12, s8, 5
	s_mov_b32 s13, s9
	v_addc_co_u32_e32 v19, vcc, v11, v26, vcc
	s_lshl_b64 s[12:13], s[12:13], 2
	v_mov_b32_e32 v27, s13
	v_add_co_u32_e32 v20, vcc, s12, v10
	s_mul_i32 s14, s8, 6
	;; [unrolled: 6-line block ×3, first 2 shown]
	v_addc_co_u32_e32 v23, vcc, v11, v28, vcc
	s_lshl_b64 s[8:9], s[8:9], 2
	v_mov_b32_e32 v29, s9
	v_add_co_u32_e32 v24, vcc, s8, v10
	v_addc_co_u32_e32 v25, vcc, v11, v29, vcc
	global_load_dword v9, v[10:11], off
	global_load_dword v30, v[12:13], off
	global_load_dword v31, v[14:15], off
	global_load_dword v32, v[16:17], off
	global_load_dword v33, v[18:19], off
	global_load_dword v34, v[20:21], off
	global_load_dword v35, v[22:23], off
	global_load_dword v36, v[24:25], off
	v_mul_u32_u24_e32 v7, 0x108, v7
	v_or_b32_e32 v6, v6, v8
	v_and_b32_e32 v8, 0x3f8, v5
	v_add_lshl_u32 v5, v7, v5, 2
	v_mul_u32_u24_e32 v6, 33, v6
	v_add_lshl_u32 v24, v8, v6, 2
	s_mov_b32 s3, 0x3e8d42af
	s_mov_b32 s17, 0x3f49234e
	;; [unrolled: 1-line block ×5, first 2 shown]
	v_add_co_u32_e32 v0, vcc, s0, v0
	s_waitcnt vmcnt(6)
	ds_write2_b32 v5, v9, v30 offset1:33
	s_waitcnt vmcnt(4)
	ds_write2_b32 v5, v31, v32 offset0:66 offset1:99
	s_waitcnt vmcnt(2)
	ds_write2_b32 v5, v33, v34 offset0:132 offset1:165
	;; [unrolled: 2-line block ×3, first 2 shown]
	ds_read2_b32 v[6:7], v24 offset1:7
	ds_read2_b32 v[8:9], v24 offset0:1 offset1:2
	ds_read2_b32 v[10:11], v24 offset0:5 offset1:6
	;; [unrolled: 1-line block ×3, first 2 shown]
	s_waitcnt lgkmcnt(3)
	v_add_f32_e32 v14, v6, v7
	v_sub_f32_e32 v15, v6, v7
	s_waitcnt lgkmcnt(1)
	v_pk_add_f32 v[16:17], v[8:9], v[10:11] op_sel:[0,1] op_sel_hi:[1,0]
	v_sub_f32_e32 v11, v11, v8
	v_mov_b32_e32 v6, v17
	v_sub_f32_e32 v18, v9, v10
	v_pk_add_f32 v[8:9], v[16:17], v[6:7] neg_lo:[0,1] neg_hi:[0,1]
	v_mul_f32_e32 v7, 0xbf968317, v11
	v_mul_f32_e32 v19, 0x3e8d42af, v11
	;; [unrolled: 1-line block ×4, first 2 shown]
	v_fmac_f32_e32 v7, 0x3fb18a86, v15
	v_mul_f32_e32 v17, 0x3f49234e, v18
	v_fmac_f32_e32 v19, 0x3f968317, v15
	v_fmac_f32_e32 v23, 0x3f49234e, v15
	;; [unrolled: 1-line block ×3, first 2 shown]
	s_waitcnt lgkmcnt(0)
	v_pk_add_f32 v[20:21], v[12:13], v[12:13] op_sel:[0,1] op_sel_hi:[1,0]
	v_mov_b32_e32 v15, 0x3e8d42af
	v_fmac_f32_e32 v23, 0x3e8d42af, v18
	v_pk_add_f32 v[12:13], v[12:13], v[12:13] op_sel:[0,1] op_sel_hi:[1,0] neg_lo:[0,1] neg_hi:[0,1]
	v_sub_f32_e32 v22, v14, v20
	v_pk_add_f32 v[6:7], v[16:17], v[6:7]
	v_pk_add_f32 v[14:15], v[20:21], v[14:15]
	v_fmac_f32_e32 v19, 0xbfb18a86, v18
	v_fmac_f32_e32 v11, 0x3f968317, v18
	v_mul_f32_e32 v18, 0x3fa73d75, v22
	v_pk_add_f32 v[16:17], v[6:7], v[14:15]
	v_pk_fma_f32 v[20:21], v[12:13], s[2:3], v[6:7] neg_lo:[1,0,0] neg_hi:[1,0,0]
	v_mul_f32_e32 v7, 0x3f968317, v13
	v_mov_b32_e32 v9, v13
	v_mov_b32_e32 v15, v23
	v_mul_f32_e32 v10, 0x3fa73d75, v8
	v_pk_fma_f32 v[8:9], v[8:9], s[16:17], v[18:19]
	v_pk_add_f32 v[6:7], v[14:15], v[6:7] neg_lo:[0,1] neg_hi:[0,1]
	v_pk_mul_f32 v[8:9], v[8:9], s[18:19] op_sel_hi:[1,0]
	v_pk_mul_f32 v[6:7], v[6:7], s[18:19] op_sel_hi:[1,0]
	v_mov_b32_e32 v23, v13
	s_mov_b32 s17, s5
	ds_write2_b32 v24, v8, v9 offset0:2 offset1:3
	ds_write2_b32 v24, v6, v7 offset0:4 offset1:5
	v_pk_fma_f32 v[6:7], v[22:23], s[16:17], v[10:11] neg_lo:[0,0,1] neg_hi:[0,0,1]
	v_pk_fma_f32 v[8:9], v[12:13], s[16:17], v[10:11]
	v_mov_b32_e32 v17, v21
	v_mov_b32_e32 v7, v9
	v_pk_mul_f32 v[16:17], v[16:17], s[18:19] op_sel_hi:[1,0]
	v_pk_mul_f32 v[6:7], v[6:7], s[18:19] op_sel_hi:[1,0]
	ds_write2_b32 v24, v16, v17 offset1:1
	ds_write2_b32 v24, v6, v7 offset0:6 offset1:7
	ds_read2_b32 v[6:7], v5 offset1:33
	ds_read2_b32 v[8:9], v5 offset0:66 offset1:99
	ds_read2_b32 v[10:11], v5 offset0:132 offset1:165
	;; [unrolled: 1-line block ×3, first 2 shown]
	v_mov_b32_e32 v5, s1
	v_addc_co_u32_e32 v1, vcc, v5, v1, vcc
	s_waitcnt lgkmcnt(1)
	v_add_f32_e32 v15, v8, v11
	s_waitcnt lgkmcnt(0)
	v_add_f32_e32 v5, v6, v13
	v_add_f32_e32 v14, v7, v12
	;; [unrolled: 1-line block ×3, first 2 shown]
	v_sub_f32_e32 v7, v12, v7
	v_sub_f32_e32 v8, v8, v11
	;; [unrolled: 1-line block ×3, first 2 shown]
	v_add_f32_e32 v10, v5, v16
	v_sub_f32_e32 v5, v5, v16
	v_add_f32_e32 v11, v14, v15
	v_sub_f32_e32 v12, v14, v15
	v_sub_f32_e32 v6, v6, v13
	v_add_f32_e32 v13, v11, v10
	v_mul_f32_e32 v14, 0x3fa73d75, v5
	v_sub_f32_e32 v10, v10, v11
	v_mul_f32_e32 v11, 0x3fa73d75, v12
	v_fmac_f32_e32 v14, 0x3f0a8bd4, v12
	v_fma_f32 v5, v5, s16, -v11
	v_mul_f32_e32 v11, 0xbf968317, v7
	v_mul_f32_e32 v12, 0x3e8d42af, v7
	;; [unrolled: 1-line block ×4, first 2 shown]
	v_fmac_f32_e32 v7, 0x3e8d42af, v6
	v_fmac_f32_e32 v7, 0x3f968317, v8
	;; [unrolled: 1-line block ×6, first 2 shown]
	v_add_co_u32_e32 v6, vcc, s2, v0
	v_fmac_f32_e32 v11, 0x3f49234e, v8
	v_fmac_f32_e32 v12, 0xbfb18a86, v8
	;; [unrolled: 1-line block ×3, first 2 shown]
	v_mul_f32_e32 v8, 0x3eb504f3, v7
	v_addc_co_u32_e32 v7, vcc, v1, v2, vcc
	v_fmac_f32_e32 v11, 0xbe8d42af, v9
	v_add_co_u32_e32 v2, vcc, s4, v0
	v_mul_f32_e32 v13, 0x3eb504f3, v13
	v_mul_f32_e32 v14, 0x3eb504f3, v14
	;; [unrolled: 1-line block ×3, first 2 shown]
	v_addc_co_u32_e32 v3, vcc, v1, v3, vcc
	v_fmac_f32_e32 v12, 0x3f49234e, v9
	global_store_dword v[0:1], v13, off
	global_store_dword v[6:7], v11, off
	;; [unrolled: 1-line block ×3, first 2 shown]
	v_add_co_u32_e32 v2, vcc, s6, v0
	v_mul_f32_e32 v12, 0x3eb504f3, v12
	v_addc_co_u32_e32 v3, vcc, v1, v4, vcc
	global_store_dword v[2:3], v12, off
	v_add_co_u32_e32 v2, vcc, s10, v0
	v_mul_f32_e32 v10, 0x3eb504f3, v10
	v_addc_co_u32_e32 v3, vcc, v1, v26, vcc
	v_fmac_f32_e32 v15, 0xbf968317, v9
	global_store_dword v[2:3], v10, off
	v_add_co_u32_e32 v2, vcc, s12, v0
	v_mul_f32_e32 v15, 0x3eb504f3, v15
	v_addc_co_u32_e32 v3, vcc, v1, v27, vcc
	global_store_dword v[2:3], v15, off
	v_add_co_u32_e32 v2, vcc, s14, v0
	v_addc_co_u32_e32 v3, vcc, v1, v28, vcc
	v_add_co_u32_e32 v0, vcc, s8, v0
	v_mul_f32_e32 v5, 0x3eb504f3, v5
	v_addc_co_u32_e32 v1, vcc, v1, v29, vcc
	global_store_dword v[2:3], v5, off
	global_store_dword v[0:1], v8, off
.LBB0_2:
	s_endpgm
	.section	.rodata,"a",@progbits
	.p2align	6, 0x0
	.amdhsa_kernel _Z13DCT8x8_kernelPfPKfjjj
		.amdhsa_group_segment_fixed_size 2112
		.amdhsa_private_segment_fixed_size 0
		.amdhsa_kernarg_size 28
		.amdhsa_user_sgpr_count 6
		.amdhsa_user_sgpr_private_segment_buffer 1
		.amdhsa_user_sgpr_dispatch_ptr 0
		.amdhsa_user_sgpr_queue_ptr 0
		.amdhsa_user_sgpr_kernarg_segment_ptr 1
		.amdhsa_user_sgpr_dispatch_id 0
		.amdhsa_user_sgpr_flat_scratch_init 0
		.amdhsa_user_sgpr_kernarg_preload_length 0
		.amdhsa_user_sgpr_kernarg_preload_offset 0
		.amdhsa_user_sgpr_private_segment_size 0
		.amdhsa_uses_dynamic_stack 0
		.amdhsa_system_sgpr_private_segment_wavefront_offset 0
		.amdhsa_system_sgpr_workgroup_id_x 1
		.amdhsa_system_sgpr_workgroup_id_y 1
		.amdhsa_system_sgpr_workgroup_id_z 0
		.amdhsa_system_sgpr_workgroup_info 0
		.amdhsa_system_vgpr_workitem_id 1
		.amdhsa_next_free_vgpr 37
		.amdhsa_next_free_sgpr 20
		.amdhsa_accum_offset 40
		.amdhsa_reserve_vcc 1
		.amdhsa_reserve_flat_scratch 0
		.amdhsa_float_round_mode_32 0
		.amdhsa_float_round_mode_16_64 0
		.amdhsa_float_denorm_mode_32 3
		.amdhsa_float_denorm_mode_16_64 3
		.amdhsa_dx10_clamp 1
		.amdhsa_ieee_mode 1
		.amdhsa_fp16_overflow 0
		.amdhsa_tg_split 0
		.amdhsa_exception_fp_ieee_invalid_op 0
		.amdhsa_exception_fp_denorm_src 0
		.amdhsa_exception_fp_ieee_div_zero 0
		.amdhsa_exception_fp_ieee_overflow 0
		.amdhsa_exception_fp_ieee_underflow 0
		.amdhsa_exception_fp_ieee_inexact 0
		.amdhsa_exception_int_div_zero 0
	.end_amdhsa_kernel
	.text
.Lfunc_end0:
	.size	_Z13DCT8x8_kernelPfPKfjjj, .Lfunc_end0-_Z13DCT8x8_kernelPfPKfjjj
                                        ; -- End function
	.section	.AMDGPU.csdata,"",@progbits
; Kernel info:
; codeLenInByte = 1320
; NumSgprs: 24
; NumVgprs: 37
; NumAgprs: 0
; TotalNumVgprs: 37
; ScratchSize: 0
; MemoryBound: 0
; FloatMode: 240
; IeeeMode: 1
; LDSByteSize: 2112 bytes/workgroup (compile time only)
; SGPRBlocks: 2
; VGPRBlocks: 4
; NumSGPRsForWavesPerEU: 24
; NumVGPRsForWavesPerEU: 37
; AccumOffset: 40
; Occupancy: 8
; WaveLimiterHint : 0
; COMPUTE_PGM_RSRC2:SCRATCH_EN: 0
; COMPUTE_PGM_RSRC2:USER_SGPR: 6
; COMPUTE_PGM_RSRC2:TRAP_HANDLER: 0
; COMPUTE_PGM_RSRC2:TGID_X_EN: 1
; COMPUTE_PGM_RSRC2:TGID_Y_EN: 1
; COMPUTE_PGM_RSRC2:TGID_Z_EN: 0
; COMPUTE_PGM_RSRC2:TIDIG_COMP_CNT: 1
; COMPUTE_PGM_RSRC3_GFX90A:ACCUM_OFFSET: 9
; COMPUTE_PGM_RSRC3_GFX90A:TG_SPLIT: 0
	.text
	.protected	_Z14IDCT8x8_kernelPfPKfjjj ; -- Begin function _Z14IDCT8x8_kernelPfPKfjjj
	.globl	_Z14IDCT8x8_kernelPfPKfjjj
	.p2align	8
	.type	_Z14IDCT8x8_kernelPfPKfjjj,@function
_Z14IDCT8x8_kernelPfPKfjjj:             ; @_Z14IDCT8x8_kernelPfPKfjjj
; %bb.0:
	s_load_dwordx4 s[8:11], s[4:5], 0x10
	v_and_b32_e32 v4, 0x3ff, v0
	v_bfe_u32 v6, v0, 10, 10
	v_lshlrev_b32_e32 v5, 3, v6
	v_and_b32_e32 v7, 7, v4
	v_lshl_add_u32 v0, s6, 5, v4
	v_lshl_add_u32 v1, s7, 4, v5
	v_xad_u32 v2, v7, 7, v0
	s_waitcnt lgkmcnt(0)
	v_cmp_gt_u32_e32 vcc, s10, v2
	v_or_b32_e32 v2, 7, v1
	v_cmp_gt_u32_e64 s[0:1], s9, v2
	s_and_b64 s[0:1], vcc, s[0:1]
	s_and_saveexec_b64 s[2:3], s[0:1]
	s_cbranch_execz .LBB1_2
; %bb.1:
	s_load_dwordx4 s[0:3], s[4:5], 0x0
	v_mad_u64_u32 v[0:1], s[4:5], v1, s8, v[0:1]
	v_mov_b32_e32 v1, 0
	v_lshlrev_b64 v[0:1], 2, v[0:1]
	s_mov_b32 s9, 0
	s_waitcnt lgkmcnt(0)
	v_mov_b32_e32 v2, s3
	v_add_co_u32_e32 v8, vcc, s2, v0
	v_addc_co_u32_e32 v9, vcc, v2, v1, vcc
	s_lshl_b64 s[2:3], s[8:9], 2
	v_mov_b32_e32 v2, s3
	v_add_co_u32_e32 v10, vcc, s2, v8
	s_lshl_b32 s4, s8, 1
	s_mov_b32 s5, s9
	v_addc_co_u32_e32 v11, vcc, v9, v2, vcc
	s_lshl_b64 s[4:5], s[4:5], 2
	v_mov_b32_e32 v3, s5
	v_add_co_u32_e32 v12, vcc, s4, v8
	s_mul_i32 s6, s8, 3
	s_mov_b32 s7, s9
	v_addc_co_u32_e32 v13, vcc, v9, v3, vcc
	s_lshl_b64 s[6:7], s[6:7], 2
	v_mov_b32_e32 v24, s7
	v_add_co_u32_e32 v14, vcc, s6, v8
	s_lshl_b32 s10, s8, 2
	s_mov_b32 s11, s9
	v_addc_co_u32_e32 v15, vcc, v9, v24, vcc
	s_lshl_b64 s[10:11], s[10:11], 2
	v_mov_b32_e32 v25, s11
	v_add_co_u32_e32 v16, vcc, s10, v8
	s_mul_i32 s12, s8, 5
	s_mov_b32 s13, s9
	v_addc_co_u32_e32 v17, vcc, v9, v25, vcc
	s_lshl_b64 s[12:13], s[12:13], 2
	v_mov_b32_e32 v26, s13
	v_add_co_u32_e32 v18, vcc, s12, v8
	s_mul_i32 s14, s8, 6
	;; [unrolled: 6-line block ×3, first 2 shown]
	v_addc_co_u32_e32 v21, vcc, v9, v27, vcc
	s_lshl_b64 s[8:9], s[8:9], 2
	v_mov_b32_e32 v28, s9
	v_add_co_u32_e32 v22, vcc, s8, v8
	v_addc_co_u32_e32 v23, vcc, v9, v28, vcc
	global_load_dword v29, v[8:9], off
	global_load_dword v30, v[10:11], off
	;; [unrolled: 1-line block ×8, first 2 shown]
	v_mul_u32_u24_e32 v6, 0x108, v6
	v_or_b32_e32 v5, v5, v7
	v_and_b32_e32 v7, 0x3f8, v4
	v_add_lshl_u32 v20, v6, v4, 2
	v_mul_u32_u24_e32 v4, 33, v5
	v_add_lshl_u32 v21, v7, v4, 2
	s_mov_b32 s18, 0xbfa73d75
	s_mov_b32 s19, 0xbfb18a86
	;; [unrolled: 1-line block ×5, first 2 shown]
	v_add_co_u32_e32 v0, vcc, s0, v0
	s_waitcnt vmcnt(6)
	ds_write2_b32 v20, v29, v30 offset1:33
	s_waitcnt vmcnt(4)
	ds_write2_b32 v20, v31, v32 offset0:66 offset1:99
	s_waitcnt vmcnt(2)
	ds_write2_b32 v20, v33, v34 offset0:132 offset1:165
	;; [unrolled: 2-line block ×3, first 2 shown]
	ds_read2_b32 v[4:5], v21 offset1:1
	ds_read2_b32 v[6:7], v21 offset0:2 offset1:3
	ds_read2_b32 v[8:9], v21 offset0:6 offset1:7
	;; [unrolled: 1-line block ×3, first 2 shown]
	s_waitcnt lgkmcnt(3)
	v_mov_b32_e32 v12, v4
	s_waitcnt lgkmcnt(2)
	v_mul_f32_e32 v13, 0x3fa73d75, v6
	s_waitcnt lgkmcnt(1)
	v_mul_f32_e32 v15, 0x3f0a8bd4, v8
	s_waitcnt lgkmcnt(0)
	v_mov_b32_e32 v14, v10
	v_mul_f32_e32 v19, 0x3fb18a86, v5
	v_pk_add_f32 v[12:13], v[12:13], v[14:15]
	v_fmac_f32_e32 v19, 0x3e8d42af, v9
	v_mov_b32_e32 v14, v13
	v_add_f32_e32 v15, v12, v13
	v_fmac_f32_e32 v19, 0x3f968317, v7
	v_pk_add_f32 v[12:13], v[12:13], v[14:15] neg_lo:[0,1] neg_hi:[0,1]
	v_fmac_f32_e32 v19, 0x3f49234e, v11
	v_mul_f32_e32 v14, 0xbe8d42af, v5
	v_mul_f32_e32 v17, 0x3f49234e, v5
	v_fmac_f32_e32 v14, 0x3fb18a86, v9
	v_mul_f32_e32 v16, 0x3f0a8bd4, v6
	v_mul_f32_e32 v6, 0x3f49234e, v9
	v_fmac_f32_e32 v17, 0x3f968317, v9
	v_add_f32_e32 v9, v15, v19
	v_mul_f32_e32 v22, 0x3eb504f3, v9
	v_sub_f32_e32 v9, v15, v19
	v_fmac_f32_e32 v14, 0x3f49234e, v7
	v_mul_f32_e32 v15, 0x3eb504f3, v9
	v_mov_b32_e32 v9, v7
	v_fmac_f32_e32 v14, 0xbf968317, v11
	v_mul_f32_e32 v18, 0x3fb18a86, v11
	v_pk_fma_f32 v[8:9], v[8:9], s[18:19], v[16:17]
	v_mov_b32_e32 v16, v4
	v_mov_b32_e32 v17, v11
	;; [unrolled: 1-line block ×3, first 2 shown]
	v_fma_f32 v6, v5, s5, -v6
	v_pk_add_f32 v[4:5], v[4:5], v[10:11] neg_lo:[0,1] neg_hi:[0,1]
	v_pk_mul_f32 v[10:11], v[16:17], s[2:3]
	v_fmac_f32_e32 v6, 0xbe8d42af, v7
	v_mov_b32_e32 v5, v11
	v_mov_b32_e32 v7, v4
	;; [unrolled: 1-line block ×3, first 2 shown]
	v_pk_add_f32 v[6:7], v[6:7], v[18:19] neg_lo:[0,1] neg_hi:[0,1]
	v_pk_add_f32 v[4:5], v[4:5], v[8:9]
	v_pk_add_f32 v[8:9], v[4:5], v[6:7]
	v_pk_mul_f32 v[8:9], v[8:9], s[16:17] op_sel_hi:[1,0]
	ds_write2_b32 v21, v8, v9 offset0:1 offset1:2
	v_pk_add_f32 v[8:9], v[12:13], v[14:15] neg_lo:[0,1] neg_hi:[0,1]
	v_pk_add_f32 v[10:11], v[12:13], v[14:15]
	v_mov_b32_e32 v9, v10
	v_pk_mul_f32 v[8:9], v[8:9], s[16:17] op_sel_hi:[1,0]
	ds_write2_b32 v21, v8, v9 offset0:3 offset1:4
	v_mov_b32_e32 v8, v7
	v_mov_b32_e32 v9, v4
	;; [unrolled: 1-line block ×4, first 2 shown]
	v_pk_add_f32 v[4:5], v[8:9], v[4:5] neg_lo:[0,1] neg_hi:[0,1]
	v_pk_mul_f32 v[4:5], v[4:5], s[16:17] op_sel_hi:[1,0]
	ds_write2_b32 v21, v4, v5 offset0:5 offset1:6
	ds_write2_b32 v21, v22, v15 offset1:7
	ds_read2_b32 v[4:5], v20 offset1:33
	ds_read2_b32 v[6:7], v20 offset0:66 offset1:99
	ds_read2_b32 v[8:9], v20 offset0:132 offset1:165
	;; [unrolled: 1-line block ×3, first 2 shown]
	v_mov_b32_e32 v12, s1
	v_addc_co_u32_e32 v1, vcc, v12, v1, vcc
	s_waitcnt lgkmcnt(1)
	v_add_f32_e32 v12, v4, v8
	v_sub_f32_e32 v4, v4, v8
	s_waitcnt lgkmcnt(0)
	v_mul_f32_e32 v8, 0xbfa73d75, v10
	v_mul_f32_e32 v13, 0x3f0a8bd4, v10
	v_fmac_f32_e32 v8, 0x3f0a8bd4, v6
	v_fmac_f32_e32 v13, 0x3fa73d75, v6
	v_add_f32_e32 v6, v4, v8
	v_sub_f32_e32 v4, v4, v8
	v_mul_f32_e32 v8, 0x3f49234e, v11
	v_add_f32_e32 v14, v12, v13
	v_sub_f32_e32 v12, v12, v13
	v_mul_f32_e32 v13, 0x3fb18a86, v5
	v_mul_f32_e32 v15, 0xbe8d42af, v5
	v_fma_f32 v8, v5, s5, -v8
	v_mul_f32_e32 v5, 0x3f49234e, v5
	v_fmac_f32_e32 v13, 0x3e8d42af, v11
	v_fmac_f32_e32 v5, 0x3f968317, v11
	;; [unrolled: 1-line block ×11, first 2 shown]
	v_add_f32_e32 v7, v14, v13
	v_sub_f32_e32 v9, v14, v13
	v_sub_f32_e32 v13, v4, v5
	v_add_f32_e32 v4, v4, v5
	v_mul_f32_e32 v14, 0x3eb504f3, v4
	v_sub_f32_e32 v4, v6, v8
	v_add_f32_e32 v10, v12, v15
	v_sub_f32_e32 v11, v12, v15
	v_add_f32_e32 v12, v6, v8
	v_mul_f32_e32 v6, 0x3eb504f3, v4
	v_add_co_u32_e32 v4, vcc, s2, v0
	v_addc_co_u32_e32 v5, vcc, v1, v2, vcc
	v_add_co_u32_e32 v2, vcc, s4, v0
	v_mul_f32_e32 v7, 0x3eb504f3, v7
	v_mul_f32_e32 v12, 0x3eb504f3, v12
	v_addc_co_u32_e32 v3, vcc, v1, v3, vcc
	global_store_dword v[0:1], v7, off
	global_store_dword v[4:5], v12, off
	;; [unrolled: 1-line block ×3, first 2 shown]
	v_add_co_u32_e32 v2, vcc, s6, v0
	v_mul_f32_e32 v11, 0x3eb504f3, v11
	v_addc_co_u32_e32 v3, vcc, v1, v24, vcc
	global_store_dword v[2:3], v11, off
	v_add_co_u32_e32 v2, vcc, s10, v0
	v_mul_f32_e32 v10, 0x3eb504f3, v10
	v_addc_co_u32_e32 v3, vcc, v1, v25, vcc
	global_store_dword v[2:3], v10, off
	;; [unrolled: 4-line block ×3, first 2 shown]
	v_add_co_u32_e32 v2, vcc, s14, v0
	v_addc_co_u32_e32 v3, vcc, v1, v27, vcc
	v_add_co_u32_e32 v0, vcc, s8, v0
	v_mul_f32_e32 v9, 0x3eb504f3, v9
	v_addc_co_u32_e32 v1, vcc, v1, v28, vcc
	global_store_dword v[2:3], v6, off
	global_store_dword v[0:1], v9, off
.LBB1_2:
	s_endpgm
	.section	.rodata,"a",@progbits
	.p2align	6, 0x0
	.amdhsa_kernel _Z14IDCT8x8_kernelPfPKfjjj
		.amdhsa_group_segment_fixed_size 2112
		.amdhsa_private_segment_fixed_size 0
		.amdhsa_kernarg_size 28
		.amdhsa_user_sgpr_count 6
		.amdhsa_user_sgpr_private_segment_buffer 1
		.amdhsa_user_sgpr_dispatch_ptr 0
		.amdhsa_user_sgpr_queue_ptr 0
		.amdhsa_user_sgpr_kernarg_segment_ptr 1
		.amdhsa_user_sgpr_dispatch_id 0
		.amdhsa_user_sgpr_flat_scratch_init 0
		.amdhsa_user_sgpr_kernarg_preload_length 0
		.amdhsa_user_sgpr_kernarg_preload_offset 0
		.amdhsa_user_sgpr_private_segment_size 0
		.amdhsa_uses_dynamic_stack 0
		.amdhsa_system_sgpr_private_segment_wavefront_offset 0
		.amdhsa_system_sgpr_workgroup_id_x 1
		.amdhsa_system_sgpr_workgroup_id_y 1
		.amdhsa_system_sgpr_workgroup_id_z 0
		.amdhsa_system_sgpr_workgroup_info 0
		.amdhsa_system_vgpr_workitem_id 1
		.amdhsa_next_free_vgpr 37
		.amdhsa_next_free_sgpr 20
		.amdhsa_accum_offset 40
		.amdhsa_reserve_vcc 1
		.amdhsa_reserve_flat_scratch 0
		.amdhsa_float_round_mode_32 0
		.amdhsa_float_round_mode_16_64 0
		.amdhsa_float_denorm_mode_32 3
		.amdhsa_float_denorm_mode_16_64 3
		.amdhsa_dx10_clamp 1
		.amdhsa_ieee_mode 1
		.amdhsa_fp16_overflow 0
		.amdhsa_tg_split 0
		.amdhsa_exception_fp_ieee_invalid_op 0
		.amdhsa_exception_fp_denorm_src 0
		.amdhsa_exception_fp_ieee_div_zero 0
		.amdhsa_exception_fp_ieee_overflow 0
		.amdhsa_exception_fp_ieee_underflow 0
		.amdhsa_exception_fp_ieee_inexact 0
		.amdhsa_exception_int_div_zero 0
	.end_amdhsa_kernel
	.text
.Lfunc_end1:
	.size	_Z14IDCT8x8_kernelPfPKfjjj, .Lfunc_end1-_Z14IDCT8x8_kernelPfPKfjjj
                                        ; -- End function
	.section	.AMDGPU.csdata,"",@progbits
; Kernel info:
; codeLenInByte = 1360
; NumSgprs: 24
; NumVgprs: 37
; NumAgprs: 0
; TotalNumVgprs: 37
; ScratchSize: 0
; MemoryBound: 0
; FloatMode: 240
; IeeeMode: 1
; LDSByteSize: 2112 bytes/workgroup (compile time only)
; SGPRBlocks: 2
; VGPRBlocks: 4
; NumSGPRsForWavesPerEU: 24
; NumVGPRsForWavesPerEU: 37
; AccumOffset: 40
; Occupancy: 8
; WaveLimiterHint : 0
; COMPUTE_PGM_RSRC2:SCRATCH_EN: 0
; COMPUTE_PGM_RSRC2:USER_SGPR: 6
; COMPUTE_PGM_RSRC2:TRAP_HANDLER: 0
; COMPUTE_PGM_RSRC2:TGID_X_EN: 1
; COMPUTE_PGM_RSRC2:TGID_Y_EN: 1
; COMPUTE_PGM_RSRC2:TGID_Z_EN: 0
; COMPUTE_PGM_RSRC2:TIDIG_COMP_CNT: 1
; COMPUTE_PGM_RSRC3_GFX90A:ACCUM_OFFSET: 9
; COMPUTE_PGM_RSRC3_GFX90A:TG_SPLIT: 0
	.text
	.p2alignl 6, 3212836864
	.fill 256, 4, 3212836864
	.type	__hip_cuid_933f1fb6873e2158,@object ; @__hip_cuid_933f1fb6873e2158
	.section	.bss,"aw",@nobits
	.globl	__hip_cuid_933f1fb6873e2158
__hip_cuid_933f1fb6873e2158:
	.byte	0                               ; 0x0
	.size	__hip_cuid_933f1fb6873e2158, 1

	.ident	"AMD clang version 19.0.0git (https://github.com/RadeonOpenCompute/llvm-project roc-6.4.0 25133 c7fe45cf4b819c5991fe208aaa96edf142730f1d)"
	.section	".note.GNU-stack","",@progbits
	.addrsig
	.addrsig_sym __hip_cuid_933f1fb6873e2158
	.amdgpu_metadata
---
amdhsa.kernels:
  - .agpr_count:     0
    .args:
      - .actual_access:  write_only
        .address_space:  global
        .offset:         0
        .size:           8
        .value_kind:     global_buffer
      - .actual_access:  read_only
        .address_space:  global
        .offset:         8
        .size:           8
        .value_kind:     global_buffer
      - .offset:         16
        .size:           4
        .value_kind:     by_value
      - .offset:         20
        .size:           4
        .value_kind:     by_value
      - .offset:         24
        .size:           4
        .value_kind:     by_value
    .group_segment_fixed_size: 2112
    .kernarg_segment_align: 8
    .kernarg_segment_size: 28
    .language:       OpenCL C
    .language_version:
      - 2
      - 0
    .max_flat_workgroup_size: 1024
    .name:           _Z13DCT8x8_kernelPfPKfjjj
    .private_segment_fixed_size: 0
    .sgpr_count:     24
    .sgpr_spill_count: 0
    .symbol:         _Z13DCT8x8_kernelPfPKfjjj.kd
    .uniform_work_group_size: 1
    .uses_dynamic_stack: false
    .vgpr_count:     37
    .vgpr_spill_count: 0
    .wavefront_size: 64
  - .agpr_count:     0
    .args:
      - .actual_access:  write_only
        .address_space:  global
        .offset:         0
        .size:           8
        .value_kind:     global_buffer
      - .actual_access:  read_only
        .address_space:  global
        .offset:         8
        .size:           8
        .value_kind:     global_buffer
      - .offset:         16
        .size:           4
        .value_kind:     by_value
      - .offset:         20
        .size:           4
        .value_kind:     by_value
      - .offset:         24
        .size:           4
        .value_kind:     by_value
    .group_segment_fixed_size: 2112
    .kernarg_segment_align: 8
    .kernarg_segment_size: 28
    .language:       OpenCL C
    .language_version:
      - 2
      - 0
    .max_flat_workgroup_size: 1024
    .name:           _Z14IDCT8x8_kernelPfPKfjjj
    .private_segment_fixed_size: 0
    .sgpr_count:     24
    .sgpr_spill_count: 0
    .symbol:         _Z14IDCT8x8_kernelPfPKfjjj.kd
    .uniform_work_group_size: 1
    .uses_dynamic_stack: false
    .vgpr_count:     37
    .vgpr_spill_count: 0
    .wavefront_size: 64
amdhsa.target:   amdgcn-amd-amdhsa--gfx90a
amdhsa.version:
  - 1
  - 2
...

	.end_amdgpu_metadata
